;; amdgpu-corpus repo=ROCm/rocFFT kind=compiled arch=gfx906 opt=O3
	.text
	.amdgcn_target "amdgcn-amd-amdhsa--gfx906"
	.amdhsa_code_object_version 6
	.protected	fft_rtc_back_len1560_factors_13_2_2_10_3_wgs_156_tpt_156_sp_op_CI_CI_sbrr_dirReg ; -- Begin function fft_rtc_back_len1560_factors_13_2_2_10_3_wgs_156_tpt_156_sp_op_CI_CI_sbrr_dirReg
	.globl	fft_rtc_back_len1560_factors_13_2_2_10_3_wgs_156_tpt_156_sp_op_CI_CI_sbrr_dirReg
	.p2align	8
	.type	fft_rtc_back_len1560_factors_13_2_2_10_3_wgs_156_tpt_156_sp_op_CI_CI_sbrr_dirReg,@function
fft_rtc_back_len1560_factors_13_2_2_10_3_wgs_156_tpt_156_sp_op_CI_CI_sbrr_dirReg: ; @fft_rtc_back_len1560_factors_13_2_2_10_3_wgs_156_tpt_156_sp_op_CI_CI_sbrr_dirReg
; %bb.0:
	s_load_dwordx4 s[16:19], s[4:5], 0x18
	s_load_dwordx4 s[8:11], s[4:5], 0x0
	;; [unrolled: 1-line block ×3, first 2 shown]
	v_mul_u32_u24_e32 v1, 0x1a5, v0
	v_add_u32_sdwa v3, s6, v1 dst_sel:DWORD dst_unused:UNUSED_PAD src0_sel:DWORD src1_sel:WORD_1
	s_waitcnt lgkmcnt(0)
	s_load_dwordx2 s[22:23], s[16:17], 0x0
	s_load_dwordx2 s[20:21], s[18:19], 0x0
	v_cmp_lt_u64_e64 s[0:1], s[10:11], 2
	v_mov_b32_e32 v1, 0
	v_mov_b32_e32 v20, 0
	;; [unrolled: 1-line block ×3, first 2 shown]
	s_and_b64 vcc, exec, s[0:1]
	v_mov_b32_e32 v21, 0
	s_cbranch_vccnz .LBB0_8
; %bb.1:
	s_load_dwordx2 s[0:1], s[4:5], 0x10
	s_add_u32 s2, s18, 8
	s_addc_u32 s3, s19, 0
	s_add_u32 s6, s16, 8
	s_addc_u32 s7, s17, 0
	v_mov_b32_e32 v20, 0
	s_waitcnt lgkmcnt(0)
	s_add_u32 s24, s0, 8
	v_mov_b32_e32 v21, 0
	v_mov_b32_e32 v16, v20
	s_addc_u32 s25, s1, 0
	s_mov_b64 s[26:27], 1
	v_mov_b32_e32 v17, v21
.LBB0_2:                                ; =>This Inner Loop Header: Depth=1
	s_load_dwordx2 s[28:29], s[24:25], 0x0
                                        ; implicit-def: $vgpr18_vgpr19
	s_waitcnt lgkmcnt(0)
	v_or_b32_e32 v2, s29, v4
	v_cmp_ne_u64_e32 vcc, 0, v[1:2]
	s_and_saveexec_b64 s[0:1], vcc
	s_xor_b64 s[30:31], exec, s[0:1]
	s_cbranch_execz .LBB0_4
; %bb.3:                                ;   in Loop: Header=BB0_2 Depth=1
	v_cvt_f32_u32_e32 v2, s28
	v_cvt_f32_u32_e32 v5, s29
	s_sub_u32 s0, 0, s28
	s_subb_u32 s1, 0, s29
	v_mac_f32_e32 v2, 0x4f800000, v5
	v_rcp_f32_e32 v2, v2
	v_mul_f32_e32 v2, 0x5f7ffffc, v2
	v_mul_f32_e32 v5, 0x2f800000, v2
	v_trunc_f32_e32 v5, v5
	v_mac_f32_e32 v2, 0xcf800000, v5
	v_cvt_u32_f32_e32 v5, v5
	v_cvt_u32_f32_e32 v2, v2
	v_mul_lo_u32 v6, s0, v5
	v_mul_hi_u32 v7, s0, v2
	v_mul_lo_u32 v9, s1, v2
	v_mul_lo_u32 v8, s0, v2
	v_add_u32_e32 v6, v7, v6
	v_add_u32_e32 v6, v6, v9
	v_mul_hi_u32 v7, v2, v8
	v_mul_lo_u32 v9, v2, v6
	v_mul_hi_u32 v11, v2, v6
	v_mul_hi_u32 v10, v5, v8
	v_mul_lo_u32 v8, v5, v8
	v_mul_hi_u32 v12, v5, v6
	v_add_co_u32_e32 v7, vcc, v7, v9
	v_addc_co_u32_e32 v9, vcc, 0, v11, vcc
	v_mul_lo_u32 v6, v5, v6
	v_add_co_u32_e32 v7, vcc, v7, v8
	v_addc_co_u32_e32 v7, vcc, v9, v10, vcc
	v_addc_co_u32_e32 v8, vcc, 0, v12, vcc
	v_add_co_u32_e32 v6, vcc, v7, v6
	v_addc_co_u32_e32 v7, vcc, 0, v8, vcc
	v_add_co_u32_e32 v2, vcc, v2, v6
	v_addc_co_u32_e32 v5, vcc, v5, v7, vcc
	v_mul_lo_u32 v6, s0, v5
	v_mul_hi_u32 v7, s0, v2
	v_mul_lo_u32 v8, s1, v2
	v_mul_lo_u32 v9, s0, v2
	v_add_u32_e32 v6, v7, v6
	v_add_u32_e32 v6, v6, v8
	v_mul_lo_u32 v10, v2, v6
	v_mul_hi_u32 v11, v2, v9
	v_mul_hi_u32 v12, v2, v6
	;; [unrolled: 1-line block ×3, first 2 shown]
	v_mul_lo_u32 v9, v5, v9
	v_mul_hi_u32 v7, v5, v6
	v_add_co_u32_e32 v10, vcc, v11, v10
	v_addc_co_u32_e32 v11, vcc, 0, v12, vcc
	v_mul_lo_u32 v6, v5, v6
	v_add_co_u32_e32 v9, vcc, v10, v9
	v_addc_co_u32_e32 v8, vcc, v11, v8, vcc
	v_addc_co_u32_e32 v7, vcc, 0, v7, vcc
	v_add_co_u32_e32 v6, vcc, v8, v6
	v_addc_co_u32_e32 v7, vcc, 0, v7, vcc
	v_add_co_u32_e32 v2, vcc, v2, v6
	v_addc_co_u32_e32 v7, vcc, v5, v7, vcc
	v_mad_u64_u32 v[5:6], s[0:1], v3, v7, 0
	v_mul_hi_u32 v8, v3, v2
	v_add_co_u32_e32 v9, vcc, v8, v5
	v_addc_co_u32_e32 v10, vcc, 0, v6, vcc
	v_mad_u64_u32 v[5:6], s[0:1], v4, v2, 0
	v_mad_u64_u32 v[7:8], s[0:1], v4, v7, 0
	v_add_co_u32_e32 v2, vcc, v9, v5
	v_addc_co_u32_e32 v2, vcc, v10, v6, vcc
	v_addc_co_u32_e32 v5, vcc, 0, v8, vcc
	v_add_co_u32_e32 v2, vcc, v2, v7
	v_addc_co_u32_e32 v7, vcc, 0, v5, vcc
	v_mul_lo_u32 v8, s29, v2
	v_mul_lo_u32 v9, s28, v7
	v_mad_u64_u32 v[5:6], s[0:1], s28, v2, 0
	v_add3_u32 v6, v6, v9, v8
	v_sub_u32_e32 v8, v4, v6
	v_mov_b32_e32 v9, s29
	v_sub_co_u32_e32 v5, vcc, v3, v5
	v_subb_co_u32_e64 v8, s[0:1], v8, v9, vcc
	v_subrev_co_u32_e64 v9, s[0:1], s28, v5
	v_subbrev_co_u32_e64 v8, s[0:1], 0, v8, s[0:1]
	v_cmp_le_u32_e64 s[0:1], s29, v8
	v_cndmask_b32_e64 v10, 0, -1, s[0:1]
	v_cmp_le_u32_e64 s[0:1], s28, v9
	v_cndmask_b32_e64 v9, 0, -1, s[0:1]
	v_cmp_eq_u32_e64 s[0:1], s29, v8
	v_cndmask_b32_e64 v8, v10, v9, s[0:1]
	v_add_co_u32_e64 v9, s[0:1], 2, v2
	v_addc_co_u32_e64 v10, s[0:1], 0, v7, s[0:1]
	v_add_co_u32_e64 v11, s[0:1], 1, v2
	v_addc_co_u32_e64 v12, s[0:1], 0, v7, s[0:1]
	v_subb_co_u32_e32 v6, vcc, v4, v6, vcc
	v_cmp_ne_u32_e64 s[0:1], 0, v8
	v_cmp_le_u32_e32 vcc, s29, v6
	v_cndmask_b32_e64 v8, v12, v10, s[0:1]
	v_cndmask_b32_e64 v10, 0, -1, vcc
	v_cmp_le_u32_e32 vcc, s28, v5
	v_cndmask_b32_e64 v5, 0, -1, vcc
	v_cmp_eq_u32_e32 vcc, s29, v6
	v_cndmask_b32_e32 v5, v10, v5, vcc
	v_cmp_ne_u32_e32 vcc, 0, v5
	v_cndmask_b32_e64 v5, v11, v9, s[0:1]
	v_cndmask_b32_e32 v19, v7, v8, vcc
	v_cndmask_b32_e32 v18, v2, v5, vcc
.LBB0_4:                                ;   in Loop: Header=BB0_2 Depth=1
	s_andn2_saveexec_b64 s[0:1], s[30:31]
	s_cbranch_execz .LBB0_6
; %bb.5:                                ;   in Loop: Header=BB0_2 Depth=1
	v_cvt_f32_u32_e32 v2, s28
	s_sub_i32 s30, 0, s28
	v_mov_b32_e32 v19, v1
	v_rcp_iflag_f32_e32 v2, v2
	v_mul_f32_e32 v2, 0x4f7ffffe, v2
	v_cvt_u32_f32_e32 v2, v2
	v_mul_lo_u32 v5, s30, v2
	v_mul_hi_u32 v5, v2, v5
	v_add_u32_e32 v2, v2, v5
	v_mul_hi_u32 v2, v3, v2
	v_mul_lo_u32 v5, v2, s28
	v_add_u32_e32 v6, 1, v2
	v_sub_u32_e32 v5, v3, v5
	v_subrev_u32_e32 v7, s28, v5
	v_cmp_le_u32_e32 vcc, s28, v5
	v_cndmask_b32_e32 v5, v5, v7, vcc
	v_cndmask_b32_e32 v2, v2, v6, vcc
	v_add_u32_e32 v6, 1, v2
	v_cmp_le_u32_e32 vcc, s28, v5
	v_cndmask_b32_e32 v18, v2, v6, vcc
.LBB0_6:                                ;   in Loop: Header=BB0_2 Depth=1
	s_or_b64 exec, exec, s[0:1]
	v_mul_lo_u32 v2, v19, s28
	v_mul_lo_u32 v7, v18, s29
	v_mad_u64_u32 v[5:6], s[0:1], v18, s28, 0
	s_load_dwordx2 s[0:1], s[6:7], 0x0
	s_load_dwordx2 s[28:29], s[2:3], 0x0
	v_add3_u32 v2, v6, v7, v2
	v_sub_co_u32_e32 v3, vcc, v3, v5
	v_subb_co_u32_e32 v2, vcc, v4, v2, vcc
	s_waitcnt lgkmcnt(0)
	v_mul_lo_u32 v4, s0, v2
	v_mul_lo_u32 v5, s1, v3
	v_mad_u64_u32 v[20:21], s[0:1], s0, v3, v[20:21]
	v_mul_lo_u32 v2, s28, v2
	v_mul_lo_u32 v6, s29, v3
	v_mad_u64_u32 v[16:17], s[0:1], s28, v3, v[16:17]
	s_add_u32 s26, s26, 1
	s_addc_u32 s27, s27, 0
	s_add_u32 s2, s2, 8
	v_add3_u32 v17, v6, v17, v2
	s_addc_u32 s3, s3, 0
	v_mov_b32_e32 v2, s10
	s_add_u32 s6, s6, 8
	v_mov_b32_e32 v3, s11
	s_addc_u32 s7, s7, 0
	v_cmp_ge_u64_e32 vcc, s[26:27], v[2:3]
	s_add_u32 s24, s24, 8
	v_add3_u32 v21, v5, v21, v4
	s_addc_u32 s25, s25, 0
	s_cbranch_vccnz .LBB0_9
; %bb.7:                                ;   in Loop: Header=BB0_2 Depth=1
	v_mov_b32_e32 v3, v18
	v_mov_b32_e32 v4, v19
	s_branch .LBB0_2
.LBB0_8:
	v_mov_b32_e32 v16, v20
	v_mov_b32_e32 v19, v4
	;; [unrolled: 1-line block ×4, first 2 shown]
.LBB0_9:
	s_load_dwordx2 s[0:1], s[4:5], 0x28
	s_mov_b32 s4, 0x1a41a42
	v_mul_hi_u32 v1, v0, s4
	s_lshl_b64 s[2:3], s[10:11], 3
	s_add_u32 s4, s18, s2
	s_waitcnt lgkmcnt(0)
	v_cmp_gt_u64_e32 vcc, s[0:1], v[18:19]
	v_mul_u32_u24_e32 v1, 0x9c, v1
	v_sub_u32_e32 v34, v0, v1
	s_movk_i32 s0, 0x78
	v_cmp_gt_u32_e64 s[0:1], s0, v34
	s_addc_u32 s5, s19, s3
	s_and_b64 s[10:11], vcc, s[0:1]
	v_mov_b32_e32 v1, 0
	v_mov_b32_e32 v0, 0
                                        ; implicit-def: $vgpr3
                                        ; implicit-def: $vgpr5
                                        ; implicit-def: $vgpr7
                                        ; implicit-def: $vgpr9
                                        ; implicit-def: $vgpr11
                                        ; implicit-def: $vgpr13
                                        ; implicit-def: $vgpr25
                                        ; implicit-def: $vgpr15
                                        ; implicit-def: $vgpr27
                                        ; implicit-def: $vgpr29
                                        ; implicit-def: $vgpr31
                                        ; implicit-def: $vgpr33
	s_and_saveexec_b64 s[6:7], s[10:11]
	s_cbranch_execz .LBB0_11
; %bb.10:
	s_add_u32 s2, s16, s2
	s_addc_u32 s3, s17, s3
	s_load_dwordx2 s[2:3], s[2:3], 0x0
	v_mad_u64_u32 v[0:1], s[10:11], s22, v34, 0
	v_add_u32_e32 v8, 0x78, v34
	s_waitcnt lgkmcnt(0)
	v_mul_lo_u32 v6, s3, v18
	v_mul_lo_u32 v7, s2, v19
	v_mad_u64_u32 v[2:3], s[2:3], s2, v18, 0
	v_mad_u64_u32 v[4:5], s[2:3], s23, v34, v[1:2]
	v_add3_u32 v3, v3, v7, v6
	v_lshlrev_b64 v[2:3], 3, v[2:3]
	v_mov_b32_e32 v1, v4
	v_mov_b32_e32 v4, s13
	v_add_co_u32_e64 v6, s[2:3], s12, v2
	v_addc_co_u32_e64 v7, s[2:3], v4, v3, s[2:3]
	v_mad_u64_u32 v[4:5], s[2:3], s22, v8, 0
	v_lshlrev_b64 v[2:3], 3, v[20:21]
	v_lshlrev_b64 v[0:1], 3, v[0:1]
	v_add_co_u32_e64 v9, s[2:3], v6, v2
	v_mov_b32_e32 v2, v5
	v_addc_co_u32_e64 v10, s[2:3], v7, v3, s[2:3]
	v_mad_u64_u32 v[2:3], s[2:3], s23, v8, v[2:3]
	v_add_u32_e32 v3, 0xf0, v34
	v_mad_u64_u32 v[6:7], s[2:3], s22, v3, 0
	v_add_co_u32_e64 v20, s[2:3], v9, v0
	v_mov_b32_e32 v5, v2
	v_mov_b32_e32 v2, v7
	v_addc_co_u32_e64 v21, s[2:3], v10, v1, s[2:3]
	v_lshlrev_b64 v[0:1], 3, v[4:5]
	v_mad_u64_u32 v[2:3], s[2:3], s23, v3, v[2:3]
	v_add_u32_e32 v5, 0x168, v34
	v_mad_u64_u32 v[3:4], s[2:3], s22, v5, 0
	v_add_co_u32_e64 v22, s[2:3], v9, v0
	v_mov_b32_e32 v7, v2
	v_mov_b32_e32 v2, v4
	v_addc_co_u32_e64 v23, s[2:3], v10, v1, s[2:3]
	v_lshlrev_b64 v[0:1], 3, v[6:7]
	v_mad_u64_u32 v[4:5], s[2:3], s23, v5, v[2:3]
	v_add_u32_e32 v7, 0x1e0, v34
	v_mad_u64_u32 v[5:6], s[2:3], s22, v7, 0
	v_add_co_u32_e64 v35, s[2:3], v9, v0
	v_mov_b32_e32 v2, v6
	v_addc_co_u32_e64 v36, s[2:3], v10, v1, s[2:3]
	v_lshlrev_b64 v[0:1], 3, v[3:4]
	v_mad_u64_u32 v[2:3], s[2:3], s23, v7, v[2:3]
	v_add_u32_e32 v7, 0x258, v34
	v_mad_u64_u32 v[3:4], s[2:3], s22, v7, 0
	v_add_co_u32_e64 v37, s[2:3], v9, v0
	v_mov_b32_e32 v6, v2
	v_mov_b32_e32 v2, v4
	v_addc_co_u32_e64 v38, s[2:3], v10, v1, s[2:3]
	v_lshlrev_b64 v[0:1], 3, v[5:6]
	v_mad_u64_u32 v[4:5], s[2:3], s23, v7, v[2:3]
	v_add_u32_e32 v7, 0x2d0, v34
	v_mad_u64_u32 v[5:6], s[2:3], s22, v7, 0
	v_add_co_u32_e64 v39, s[2:3], v9, v0
	;; [unrolled: 15-line block ×5, first 2 shown]
	v_mov_b32_e32 v2, v6
	v_addc_co_u32_e64 v52, s[2:3], v10, v1, s[2:3]
	v_lshlrev_b64 v[0:1], 3, v[3:4]
	v_mad_u64_u32 v[2:3], s[2:3], s23, v7, v[2:3]
	v_add_co_u32_e64 v53, s[2:3], v9, v0
	v_mov_b32_e32 v6, v2
	v_addc_co_u32_e64 v54, s[2:3], v10, v1, s[2:3]
	v_lshlrev_b64 v[0:1], 3, v[5:6]
	v_add_co_u32_e64 v55, s[2:3], v9, v0
	v_addc_co_u32_e64 v56, s[2:3], v10, v1, s[2:3]
	global_load_dwordx2 v[0:1], v[20:21], off
	global_load_dwordx2 v[2:3], v[22:23], off
	;; [unrolled: 1-line block ×13, first 2 shown]
.LBB0_11:
	s_or_b64 exec, exec, s[6:7]
	s_waitcnt vmcnt(0)
	v_sub_f32_e32 v47, v3, v25
	v_add_f32_e32 v35, v2, v24
	s_mov_b32 s6, 0x3f116cb1
	v_mul_f32_e32 v49, 0xbf52af12, v47
	v_sub_f32_e32 v48, v5, v15
	v_fma_f32 v20, v35, s6, -v49
	v_add_f32_e32 v36, v4, v14
	s_mov_b32 s7, 0xbeb58ec6
	v_mul_f32_e32 v53, 0xbf6f5d39, v48
	v_sub_f32_e32 v51, v2, v24
	v_add_f32_e32 v20, v0, v20
	v_fma_f32 v21, v36, s7, -v53
	v_mul_f32_e32 v57, 0xbf52af12, v51
	v_sub_f32_e32 v52, v4, v14
	v_add_f32_e32 v20, v20, v21
	v_add_f32_e32 v38, v3, v25
	v_mov_b32_e32 v21, v57
	v_mul_f32_e32 v58, 0xbf6f5d39, v52
	v_fmac_f32_e32 v21, 0x3f116cb1, v38
	v_add_f32_e32 v39, v5, v15
	v_mov_b32_e32 v22, v58
	v_sub_f32_e32 v50, v7, v27
	v_add_f32_e32 v21, v1, v21
	v_fmac_f32_e32 v22, 0xbeb58ec6, v39
	s_mov_b32 s10, 0xbf788fa5
	v_add_f32_e32 v37, v6, v26
	v_mul_f32_e32 v56, 0xbe750f2a, v50
	v_sub_f32_e32 v55, v6, v26
	v_add_f32_e32 v21, v21, v22
	v_fma_f32 v22, v37, s10, -v56
	v_mul_f32_e32 v61, 0xbe750f2a, v55
	v_add_f32_e32 v20, v20, v22
	v_add_f32_e32 v40, v7, v27
	v_mov_b32_e32 v22, v61
	v_sub_f32_e32 v54, v9, v29
	v_fmac_f32_e32 v22, 0xbf788fa5, v40
	s_mov_b32 s11, 0xbf3f9e67
	v_add_f32_e32 v41, v8, v28
	v_mul_f32_e32 v62, 0x3f29c268, v54
	v_sub_f32_e32 v60, v8, v28
	v_add_f32_e32 v21, v21, v22
	v_fma_f32 v22, v41, s11, -v62
	v_mul_f32_e32 v65, 0x3f29c268, v60
	v_add_f32_e32 v20, v20, v22
	v_add_f32_e32 v43, v9, v29
	v_mov_b32_e32 v22, v65
	v_sub_f32_e32 v59, v11, v31
	;; [unrolled: 12-line block ×3, first 2 shown]
	v_fmac_f32_e32 v22, 0x3df6dbef, v45
	s_mov_b32 s13, 0x3f62ad3f
	v_add_f32_e32 v44, v12, v32
	v_mul_f32_e32 v69, 0x3eedf032, v63
	v_sub_f32_e32 v67, v12, v32
	v_add_f32_e32 v21, v21, v22
	v_fma_f32 v22, v44, s13, -v69
	v_mul_f32_e32 v70, 0x3eedf032, v67
	v_add_f32_e32 v20, v20, v22
	v_add_f32_e32 v46, v13, v33
	v_mov_b32_e32 v22, v70
	v_fmac_f32_e32 v22, 0x3f62ad3f, v46
	v_mul_f32_e32 v72, 0xbf7e222b, v47
	v_add_f32_e32 v21, v21, v22
	v_fma_f32 v22, v35, s12, -v72
	v_mul_f32_e32 v71, 0xbe750f2a, v48
	v_add_f32_e32 v22, v0, v22
	v_fma_f32 v23, v36, s10, -v71
	v_mul_f32_e32 v77, 0xbf7e222b, v51
	v_add_f32_e32 v22, v22, v23
	v_mov_b32_e32 v23, v77
	v_mul_f32_e32 v78, 0xbe750f2a, v52
	v_fmac_f32_e32 v23, 0x3df6dbef, v38
	v_mov_b32_e32 v73, v78
	v_add_f32_e32 v23, v1, v23
	v_fmac_f32_e32 v73, 0xbf788fa5, v39
	v_add_f32_e32 v23, v23, v73
	v_mul_f32_e32 v73, 0x3f6f5d39, v50
	v_fma_f32 v74, v37, s7, -v73
	v_mul_f32_e32 v79, 0x3f6f5d39, v55
	v_add_f32_e32 v22, v22, v74
	v_mov_b32_e32 v74, v79
	v_fmac_f32_e32 v74, 0xbeb58ec6, v40
	v_add_f32_e32 v23, v23, v74
	v_mul_f32_e32 v74, 0x3eedf032, v54
	v_fma_f32 v75, v41, s13, -v74
	v_mul_f32_e32 v80, 0x3eedf032, v60
	v_add_f32_e32 v22, v22, v75
	v_mov_b32_e32 v75, v80
	;; [unrolled: 7-line block ×3, first 2 shown]
	v_fmac_f32_e32 v76, 0x3f116cb1, v45
	v_add_f32_e32 v23, v23, v76
	v_mul_f32_e32 v76, 0xbf29c268, v63
	v_fma_f32 v82, v44, s11, -v76
	v_add_f32_e32 v22, v22, v82
	v_mul_f32_e32 v82, 0xbf29c268, v67
	v_mov_b32_e32 v83, v82
	v_fmac_f32_e32 v83, 0xbf3f9e67, v46
	v_add_f32_e32 v23, v23, v83
	s_and_saveexec_b64 s[2:3], s[0:1]
	s_cbranch_execz .LBB0_13
; %bb.12:
	v_mul_f32_e32 v89, 0xbe750f2a, v51
	v_fma_f32 v83, v38, s10, -v89
	v_mul_f32_e32 v90, 0x3eedf032, v52
	v_add_f32_e32 v83, v1, v83
	v_fma_f32 v84, v39, s13, -v90
	v_mul_f32_e32 v91, 0xbf29c268, v55
	v_add_f32_e32 v83, v83, v84
	;; [unrolled: 3-line block ×6, first 2 shown]
	v_mov_b32_e32 v83, v95
	v_mul_f32_e32 v96, 0x3eedf032, v48
	v_fmac_f32_e32 v83, 0xbf788fa5, v35
	v_mov_b32_e32 v85, v96
	v_add_f32_e32 v83, v0, v83
	v_fmac_f32_e32 v85, 0x3f62ad3f, v36
	v_mul_f32_e32 v97, 0xbf29c268, v50
	v_add_f32_e32 v83, v83, v85
	v_mov_b32_e32 v85, v97
	v_fmac_f32_e32 v85, 0xbf3f9e67, v37
	v_mul_f32_e32 v98, 0x3f52af12, v54
	v_add_f32_e32 v83, v83, v85
	v_mov_b32_e32 v85, v98
	;; [unrolled: 4-line block ×4, first 2 shown]
	v_fmac_f32_e32 v85, 0x3df6dbef, v44
	v_mul_f32_e32 v101, 0xbf29c268, v51
	v_add_f32_e32 v83, v83, v85
	v_fma_f32 v85, v38, s11, -v101
	v_mul_f32_e32 v102, 0x3f7e222b, v52
	v_add_f32_e32 v85, v1, v85
	v_fma_f32 v86, v39, s12, -v102
	;; [unrolled: 3-line block ×6, first 2 shown]
	v_mul_f32_e32 v107, 0xbf29c268, v47
	v_add_f32_e32 v86, v85, v86
	v_mov_b32_e32 v85, v107
	v_mul_f32_e32 v108, 0x3f7e222b, v48
	v_fmac_f32_e32 v85, 0xbf3f9e67, v35
	v_mov_b32_e32 v87, v108
	v_add_f32_e32 v85, v0, v85
	v_fmac_f32_e32 v87, 0x3df6dbef, v36
	v_mul_f32_e32 v109, 0xbf52af12, v50
	v_add_f32_e32 v85, v85, v87
	v_mov_b32_e32 v87, v109
	v_fmac_f32_e32 v87, 0x3f116cb1, v37
	v_mul_f32_e32 v110, 0x3e750f2a, v54
	v_add_f32_e32 v85, v85, v87
	v_mov_b32_e32 v87, v110
	;; [unrolled: 4-line block ×4, first 2 shown]
	v_fmac_f32_e32 v87, 0xbeb58ec6, v44
	v_mul_f32_e32 v113, 0xbf6f5d39, v51
	v_add_f32_e32 v85, v85, v87
	v_fma_f32 v87, v38, s7, -v113
	v_mul_f32_e32 v114, 0x3f29c268, v52
	v_add_f32_e32 v87, v1, v87
	v_fma_f32 v88, v39, s11, -v114
	;; [unrolled: 3-line block ×5, first 2 shown]
	v_mul_f32_e32 v118, 0xbf6f5d39, v47
	v_add_f32_e32 v87, v87, v88
	v_mov_b32_e32 v88, v118
	v_mul_f32_e32 v119, 0x3f29c268, v48
	v_fmac_f32_e32 v88, 0xbeb58ec6, v35
	v_mov_b32_e32 v120, v119
	v_add_f32_e32 v88, v0, v88
	v_fmac_f32_e32 v120, 0xbf3f9e67, v36
	v_add_f32_e32 v88, v88, v120
	v_mul_f32_e32 v120, 0x3eedf032, v50
	v_mov_b32_e32 v121, v120
	v_fmac_f32_e32 v121, 0x3f62ad3f, v37
	v_add_f32_e32 v88, v88, v121
	v_mul_f32_e32 v121, 0xbf7e222b, v54
	v_mov_b32_e32 v122, v121
	;; [unrolled: 4-line block ×3, first 2 shown]
	v_fmac_f32_e32 v123, 0xbf788fa5, v42
	v_mul_f32_e32 v124, 0x3f52af12, v67
	v_add_f32_e32 v123, v88, v123
	v_fma_f32 v88, v46, s6, -v124
	v_mul_f32_e32 v125, 0x3f52af12, v63
	v_add_f32_e32 v88, v87, v88
	v_mov_b32_e32 v87, v125
	v_fmac_f32_e32 v87, 0x3f116cb1, v44
	v_add_f32_e32 v87, v123, v87
	v_mul_f32_e32 v123, 0x3df6dbef, v38
	v_sub_f32_e32 v77, v123, v77
	v_mul_f32_e32 v123, 0xbf788fa5, v39
	v_sub_f32_e32 v78, v123, v78
	v_add_f32_e32 v77, v1, v77
	v_add_f32_e32 v2, v0, v2
	v_fmac_f32_e32 v89, 0xbf788fa5, v38
	v_add_f32_e32 v77, v77, v78
	v_mul_f32_e32 v78, 0xbeb58ec6, v40
	v_add_f32_e32 v2, v2, v4
	v_add_f32_e32 v4, v1, v89
	v_fmac_f32_e32 v90, 0x3f62ad3f, v39
	v_sub_f32_e32 v78, v78, v79
	v_mul_f32_e32 v79, 0x3df6dbef, v35
	v_add_f32_e32 v4, v4, v90
	v_fmac_f32_e32 v91, 0xbf3f9e67, v40
	v_add_f32_e32 v72, v72, v79
	v_mul_f32_e32 v79, 0xbf788fa5, v36
	v_add_f32_e32 v4, v4, v91
	v_fmac_f32_e32 v92, 0x3f116cb1, v43
	v_add_f32_e32 v71, v71, v79
	v_add_f32_e32 v72, v0, v72
	;; [unrolled: 1-line block ×3, first 2 shown]
	v_fmac_f32_e32 v93, 0xbeb58ec6, v45
	v_add_f32_e32 v71, v72, v71
	v_mul_f32_e32 v72, 0xbeb58ec6, v37
	v_add_f32_e32 v3, v1, v3
	v_add_f32_e32 v4, v4, v93
	v_fmac_f32_e32 v94, 0x3df6dbef, v46
	v_add_f32_e32 v72, v73, v72
	v_add_f32_e32 v3, v3, v5
	;; [unrolled: 1-line block ×3, first 2 shown]
	v_fma_f32 v4, v35, s10, -v95
	v_add_f32_e32 v71, v71, v72
	v_mul_f32_e32 v72, 0x3f62ad3f, v41
	v_add_f32_e32 v2, v2, v6
	v_add_f32_e32 v4, v0, v4
	v_fma_f32 v6, v36, s13, -v96
	v_add_f32_e32 v77, v77, v78
	v_mul_f32_e32 v78, 0x3f62ad3f, v43
	v_add_f32_e32 v72, v74, v72
	v_add_f32_e32 v4, v4, v6
	v_fma_f32 v6, v37, s11, -v97
	v_sub_f32_e32 v78, v78, v80
	v_add_f32_e32 v71, v71, v72
	v_mul_f32_e32 v72, 0x3f116cb1, v42
	v_add_f32_e32 v4, v4, v6
	v_fma_f32 v6, v41, s6, -v98
	v_add_f32_e32 v77, v77, v78
	v_mul_f32_e32 v78, 0x3f116cb1, v45
	v_add_f32_e32 v72, v75, v72
	v_add_f32_e32 v4, v4, v6
	v_fma_f32 v6, v42, s7, -v99
	v_sub_f32_e32 v78, v78, v81
	v_mul_f32_e32 v73, 0x3f116cb1, v35
	v_add_f32_e32 v71, v71, v72
	v_mul_f32_e32 v72, 0xbf3f9e67, v44
	v_add_f32_e32 v4, v4, v6
	v_fma_f32 v6, v44, s12, -v100
	v_fmac_f32_e32 v101, 0xbf3f9e67, v38
	v_add_f32_e32 v77, v77, v78
	v_mul_f32_e32 v78, 0xbf3f9e67, v46
	v_mul_f32_e32 v74, 0x3f116cb1, v38
	;; [unrolled: 1-line block ×3, first 2 shown]
	v_add_f32_e32 v76, v76, v72
	v_add_f32_e32 v49, v49, v73
	;; [unrolled: 1-line block ×4, first 2 shown]
	v_fmac_f32_e32 v102, 0x3df6dbef, v39
	v_sub_f32_e32 v78, v78, v82
	v_mul_f32_e32 v79, 0xbeb58ec6, v39
	v_add_f32_e32 v71, v71, v76
	v_mul_f32_e32 v76, 0xbf788fa5, v37
	v_sub_f32_e32 v57, v74, v57
	v_add_f32_e32 v49, v0, v49
	v_add_f32_e32 v53, v53, v75
	;; [unrolled: 1-line block ×3, first 2 shown]
	v_fmac_f32_e32 v103, 0x3f116cb1, v40
	v_add_f32_e32 v72, v77, v78
	v_mul_f32_e32 v77, 0xbf788fa5, v40
	v_mul_f32_e32 v74, 0xbf3f9e67, v41
	v_sub_f32_e32 v58, v79, v58
	v_add_f32_e32 v57, v1, v57
	v_add_f32_e32 v49, v49, v53
	;; [unrolled: 1-line block ×4, first 2 shown]
	v_fmac_f32_e32 v104, 0xbf788fa5, v43
	v_add_f32_e32 v57, v57, v58
	v_mul_f32_e32 v58, 0x3df6dbef, v42
	v_sub_f32_e32 v61, v77, v61
	v_add_f32_e32 v49, v49, v53
	v_add_f32_e32 v53, v62, v74
	;; [unrolled: 1-line block ×3, first 2 shown]
	v_fmac_f32_e32 v105, 0x3f62ad3f, v45
	v_add_f32_e32 v57, v57, v61
	v_mul_f32_e32 v61, 0x3f62ad3f, v44
	v_add_f32_e32 v49, v49, v53
	v_add_f32_e32 v53, v66, v58
	v_add_f32_e32 v6, v6, v105
	v_fmac_f32_e32 v106, 0xbeb58ec6, v46
	v_add_f32_e32 v49, v49, v53
	v_add_f32_e32 v53, v69, v61
	v_mul_f32_e32 v51, 0xbeedf032, v51
	v_add_f32_e32 v3, v3, v7
	v_add_f32_e32 v7, v6, v106
	v_fma_f32 v6, v35, s11, -v107
	v_add_f32_e32 v56, v49, v53
	v_fma_f32 v49, v38, s13, -v51
	v_mul_f32_e32 v52, 0xbf52af12, v52
	v_add_f32_e32 v2, v2, v8
	v_add_f32_e32 v6, v0, v6
	v_fma_f32 v8, v36, s12, -v108
	v_add_f32_e32 v49, v1, v49
	v_fma_f32 v53, v39, s6, -v52
	;; [unrolled: 2-line block ×3, first 2 shown]
	v_add_f32_e32 v49, v49, v53
	v_mul_f32_e32 v53, 0xbf7e222b, v55
	v_add_f32_e32 v6, v6, v8
	v_fma_f32 v8, v41, s10, -v110
	v_fma_f32 v55, v40, s12, -v53
	v_add_f32_e32 v6, v6, v8
	v_fma_f32 v8, v42, s13, -v111
	v_add_f32_e32 v49, v49, v55
	v_mul_f32_e32 v55, 0xbf6f5d39, v60
	v_add_f32_e32 v6, v6, v8
	v_fma_f32 v8, v44, s7, -v112
	v_fmac_f32_e32 v113, 0xbeb58ec6, v38
	v_fma_f32 v58, v43, s7, -v55
	v_add_f32_e32 v6, v6, v8
	v_add_f32_e32 v8, v1, v113
	v_fmac_f32_e32 v114, 0xbf3f9e67, v39
	v_add_f32_e32 v49, v49, v58
	v_mul_f32_e32 v58, 0xbf29c268, v64
	v_add_f32_e32 v8, v8, v114
	v_fmac_f32_e32 v115, 0x3f62ad3f, v40
	v_fma_f32 v60, v45, s11, -v58
	v_add_f32_e32 v8, v8, v115
	v_fmac_f32_e32 v116, 0x3df6dbef, v43
	v_add_f32_e32 v49, v49, v60
	v_mul_f32_e32 v60, 0xbe750f2a, v67
	v_add_f32_e32 v8, v8, v116
	v_fmac_f32_e32 v117, 0xbf788fa5, v45
	v_fma_f32 v61, v46, s10, -v60
	v_mul_f32_e32 v47, 0xbeedf032, v47
	v_add_f32_e32 v8, v8, v117
	v_fmac_f32_e32 v124, 0x3f116cb1, v46
	v_add_f32_e32 v49, v49, v61
	v_mov_b32_e32 v61, v47
	v_mul_f32_e32 v62, 0xbf52af12, v48
	v_add_f32_e32 v3, v3, v9
	v_add_f32_e32 v9, v8, v124
	v_fma_f32 v8, v35, s7, -v118
	v_fmac_f32_e32 v61, 0x3f62ad3f, v35
	v_mov_b32_e32 v48, v62
	v_add_f32_e32 v2, v2, v10
	v_add_f32_e32 v8, v0, v8
	v_fma_f32 v10, v36, s11, -v119
	v_add_f32_e32 v61, v0, v61
	v_fmac_f32_e32 v48, 0x3f116cb1, v36
	v_mul_f32_e32 v50, 0xbf7e222b, v50
	v_add_f32_e32 v8, v8, v10
	v_fma_f32 v10, v37, s13, -v120
	v_add_f32_e32 v48, v61, v48
	v_mov_b32_e32 v61, v50
	v_add_f32_e32 v8, v8, v10
	v_fma_f32 v10, v41, s12, -v121
	v_fmac_f32_e32 v61, 0x3df6dbef, v37
	v_mul_f32_e32 v54, 0xbf6f5d39, v54
	v_add_f32_e32 v8, v8, v10
	v_fma_f32 v10, v42, s10, -v122
	v_add_f32_e32 v48, v48, v61
	v_mov_b32_e32 v61, v54
	v_add_f32_e32 v3, v3, v11
	v_add_f32_e32 v8, v8, v10
	v_fma_f32 v10, v44, s6, -v125
	v_fmac_f32_e32 v61, 0xbeb58ec6, v41
	v_mul_f32_e32 v59, 0xbf29c268, v59
	v_add_f32_e32 v3, v3, v13
	v_add_f32_e32 v2, v2, v12
	v_add_f32_e32 v8, v8, v10
	v_fma_f32 v10, v35, s13, -v47
	v_add_f32_e32 v48, v48, v61
	v_mov_b32_e32 v61, v59
	v_add_f32_e32 v3, v3, v33
	v_add_f32_e32 v2, v2, v32
	v_fmac_f32_e32 v51, 0x3f62ad3f, v38
	v_add_f32_e32 v0, v0, v10
	v_fma_f32 v10, v36, s6, -v62
	v_fmac_f32_e32 v61, 0xbf3f9e67, v42
	v_add_f32_e32 v3, v31, v3
	v_add_f32_e32 v2, v30, v2
	;; [unrolled: 1-line block ×3, first 2 shown]
	v_fmac_f32_e32 v52, 0x3f116cb1, v39
	v_add_f32_e32 v0, v0, v10
	v_fma_f32 v10, v37, s12, -v50
	v_mul_f32_e32 v78, 0xbf3f9e67, v43
	v_add_f32_e32 v48, v48, v61
	v_mul_f32_e32 v61, 0xbe750f2a, v63
	v_add_f32_e32 v3, v29, v3
	v_add_f32_e32 v2, v28, v2
	;; [unrolled: 1-line block ×3, first 2 shown]
	v_fmac_f32_e32 v53, 0x3df6dbef, v40
	v_add_f32_e32 v0, v0, v10
	v_fma_f32 v10, v41, s7, -v54
	v_mul_f32_e32 v77, 0x3df6dbef, v45
	v_sub_f32_e32 v65, v78, v65
	v_mov_b32_e32 v63, v61
	v_add_f32_e32 v3, v27, v3
	v_add_f32_e32 v2, v26, v2
	;; [unrolled: 1-line block ×3, first 2 shown]
	v_fmac_f32_e32 v55, 0xbeb58ec6, v43
	v_add_f32_e32 v0, v0, v10
	v_fma_f32 v10, v42, s11, -v59
	v_mul_f32_e32 v78, 0x3f62ad3f, v46
	v_add_f32_e32 v57, v57, v65
	v_sub_f32_e32 v65, v77, v68
	v_fmac_f32_e32 v63, 0xbf788fa5, v44
	v_add_f32_e32 v3, v15, v3
	v_add_f32_e32 v2, v14, v2
	;; [unrolled: 1-line block ×3, first 2 shown]
	v_fmac_f32_e32 v58, 0xbf3f9e67, v45
	v_add_f32_e32 v0, v0, v10
	v_fma_f32 v10, v44, s10, -v61
	s_movk_i32 s0, 0x68
	v_add_f32_e32 v57, v57, v65
	v_sub_f32_e32 v65, v78, v70
	v_add_f32_e32 v48, v48, v63
	v_add_f32_e32 v3, v25, v3
	;; [unrolled: 1-line block ×4, first 2 shown]
	v_fmac_f32_e32 v60, 0xbf788fa5, v46
	v_add_f32_e32 v0, v0, v10
	v_mad_u32_u24 v10, v34, s0, 0
	v_add_f32_e32 v57, v57, v65
	v_add_f32_e32 v1, v1, v60
	ds_write2_b64 v10, v[2:3], v[48:49] offset1:1
	ds_write2_b64 v10, v[56:57], v[71:72] offset0:2 offset1:3
	ds_write2_b64 v10, v[87:88], v[85:86] offset0:4 offset1:5
	;; [unrolled: 1-line block ×5, first 2 shown]
	ds_write_b64 v10, v[0:1] offset:96
.LBB0_13:
	s_or_b64 exec, exec, s[2:3]
	s_movk_i32 s0, 0x4f
	v_mul_lo_u16_sdwa v29, v34, s0 dst_sel:DWORD dst_unused:UNUSED_PAD src0_sel:BYTE_0 src1_sel:DWORD
	v_add_u32_e32 v32, 0x9c, v34
	v_lshrrev_b16_e32 v33, 10, v29
	s_movk_i32 s0, 0x4ec5
	v_mul_lo_u16_e32 v0, 13, v33
	v_mul_u32_u24_sdwa v48, v32, s0 dst_sel:DWORD dst_unused:UNUSED_PAD src0_sel:WORD_0 src1_sel:DWORD
	v_add_u32_e32 v31, 0x138, v34
	v_sub_u16_e32 v1, v34, v0
	v_mov_b32_e32 v0, 3
	v_lshrrev_b32_e32 v49, 18, v48
	v_lshlrev_b32_sdwa v47, v0, v1 dst_sel:DWORD dst_unused:UNUSED_PAD src0_sel:DWORD src1_sel:BYTE_0
	v_mul_lo_u16_e32 v1, 13, v49
	v_mul_u32_u24_sdwa v51, v31, s0 dst_sel:DWORD dst_unused:UNUSED_PAD src0_sel:WORD_0 src1_sel:DWORD
	v_add_u32_e32 v30, 0x1d4, v34
	v_sub_u16_e32 v1, v32, v1
	v_lshrrev_b32_e32 v52, 18, v51
	v_lshlrev_b32_e32 v50, 3, v1
	v_mul_lo_u16_e32 v1, 13, v52
	v_mul_u32_u24_sdwa v54, v30, s0 dst_sel:DWORD dst_unused:UNUSED_PAD src0_sel:WORD_0 src1_sel:DWORD
	v_sub_u16_e32 v1, v31, v1
	v_lshrrev_b32_e32 v55, 18, v54
	v_lshlrev_b32_e32 v53, 3, v1
	v_mul_lo_u16_e32 v1, 13, v55
	v_add_u32_e32 v15, 0x270, v34
	v_sub_u16_e32 v1, v30, v1
	s_load_dwordx2 s[2:3], s[4:5], 0x0
	s_waitcnt lgkmcnt(0)
	s_barrier
	v_lshlrev_b32_e32 v56, 3, v1
	global_load_dwordx2 v[13:14], v47, s[8:9]
	global_load_dwordx2 v[24:25], v50, s[8:9]
	;; [unrolled: 1-line block ×4, first 2 shown]
	v_mul_u32_u24_sdwa v57, v15, s0 dst_sel:DWORD dst_unused:UNUSED_PAD src0_sel:WORD_0 src1_sel:DWORD
	v_lshrrev_b32_e32 v58, 18, v57
	v_mul_lo_u16_e32 v1, 13, v58
	v_sub_u16_e32 v1, v15, v1
	v_lshlrev_b32_e32 v59, 3, v1
	global_load_dwordx2 v[45:46], v59, s[8:9]
	v_lshl_add_u32 v26, v34, 3, 0
	v_add_u32_e32 v60, 0x1200, v26
	ds_read2_b64 v[5:8], v60 offset0:48 offset1:204
	ds_read2_b64 v[1:4], v26 offset1:156
	v_add_u32_e32 v61, 0x1c00, v26
	v_add_u32_e32 v62, 0x800, v26
	;; [unrolled: 1-line block ×3, first 2 shown]
	ds_read2_b64 v[9:12], v61 offset0:40 offset1:196
	ds_read2_b64 v[35:38], v62 offset0:56 offset1:212
	;; [unrolled: 1-line block ×3, first 2 shown]
	v_mul_u32_u24_e32 v33, 0xd0, v33
	v_add3_u32 v33, 0, v33, v47
	s_waitcnt vmcnt(0) lgkmcnt(0)
	s_barrier
	v_lshrrev_b32_e32 v48, 19, v48
	v_cmp_gt_u32_e64 s[0:1], 52, v34
	v_mul_f32_e32 v64, v14, v8
	v_mul_f32_e32 v14, v14, v7
	v_fmac_f32_e32 v64, v13, v7
	v_fma_f32 v8, v13, v8, -v14
	v_mul_f32_e32 v65, v25, v10
	v_mul_f32_e32 v25, v25, v9
	v_sub_f32_e32 v7, v1, v64
	v_sub_f32_e32 v8, v2, v8
	v_fmac_f32_e32 v65, v24, v9
	v_fma_f32 v10, v24, v10, -v25
	v_fma_f32 v1, v1, 2.0, -v7
	v_fma_f32 v2, v2, 2.0, -v8
	v_mul_f32_e32 v66, v28, v12
	v_mul_f32_e32 v28, v28, v11
	v_sub_f32_e32 v9, v3, v65
	v_sub_f32_e32 v10, v4, v10
	ds_write2_b64 v33, v[1:2], v[7:8] offset1:13
	v_mul_u32_u24_e32 v1, 0xd0, v49
	v_fmac_f32_e32 v66, v27, v11
	v_fma_f32 v12, v27, v12, -v28
	v_fma_f32 v3, v3, 2.0, -v9
	v_fma_f32 v4, v4, 2.0, -v10
	v_add3_u32 v1, 0, v1, v50
	v_mul_f32_e32 v67, v44, v40
	v_mul_f32_e32 v44, v44, v39
	v_sub_f32_e32 v11, v35, v66
	v_sub_f32_e32 v12, v36, v12
	ds_write2_b64 v1, v[3:4], v[9:10] offset1:13
	v_mul_u32_u24_e32 v1, 0xd0, v52
	v_fmac_f32_e32 v67, v43, v39
	v_fma_f32 v14, v43, v40, -v44
	v_fma_f32 v27, v35, 2.0, -v11
	v_fma_f32 v28, v36, 2.0, -v12
	v_add3_u32 v1, 0, v1, v53
	;; [unrolled: 11-line block ×3, first 2 shown]
	v_sub_f32_e32 v24, v5, v68
	v_sub_f32_e32 v25, v6, v25
	ds_write2_b64 v1, v[35:36], v[13:14] offset1:13
	v_mul_u32_u24_e32 v1, 0xd0, v58
	v_fma_f32 v5, v5, 2.0, -v24
	v_fma_f32 v6, v6, 2.0, -v25
	v_add3_u32 v1, 0, v1, v59
	v_lshrrev_b16_e32 v33, 11, v29
	ds_write2_b64 v1, v[5:6], v[24:25] offset1:13
	v_mul_lo_u16_e32 v1, 26, v33
	v_sub_u16_e32 v1, v34, v1
	v_lshlrev_b32_sdwa v47, v0, v1 dst_sel:DWORD dst_unused:UNUSED_PAD src0_sel:DWORD src1_sel:BYTE_0
	v_mul_lo_u16_e32 v1, 26, v48
	v_sub_u16_e32 v1, v32, v1
	v_lshrrev_b32_e32 v50, 19, v51
	v_lshlrev_b32_e32 v49, 3, v1
	v_mul_lo_u16_e32 v1, 26, v50
	v_sub_u16_e32 v1, v31, v1
	v_lshrrev_b32_e32 v52, 19, v54
	v_lshlrev_b32_e32 v51, 3, v1
	v_mul_lo_u16_e32 v1, 26, v52
	v_sub_u16_e32 v1, v30, v1
	s_waitcnt lgkmcnt(0)
	s_barrier
	v_lshlrev_b32_e32 v53, 3, v1
	global_load_dwordx2 v[13:14], v47, s[8:9] offset:104
	global_load_dwordx2 v[24:25], v49, s[8:9] offset:104
	;; [unrolled: 1-line block ×4, first 2 shown]
	v_lshrrev_b32_e32 v54, 19, v57
	v_mul_lo_u16_e32 v1, 26, v54
	v_sub_u16_e32 v1, v15, v1
	v_lshlrev_b32_e32 v15, 3, v1
	global_load_dwordx2 v[45:46], v15, s[8:9] offset:104
	ds_read2_b64 v[1:4], v60 offset0:48 offset1:204
	ds_read2_b64 v[5:8], v26 offset1:156
	ds_read2_b64 v[9:12], v61 offset0:40 offset1:196
	ds_read2_b64 v[35:38], v62 offset0:56 offset1:212
	;; [unrolled: 1-line block ×3, first 2 shown]
	v_mul_u32_u24_e32 v33, 0x1a0, v33
	v_add3_u32 v33, 0, v33, v47
	s_waitcnt vmcnt(0) lgkmcnt(0)
	s_barrier
	v_mul_f32_e32 v55, v14, v4
	v_mul_f32_e32 v14, v14, v3
	v_fmac_f32_e32 v55, v13, v3
	v_fma_f32 v4, v13, v4, -v14
	v_mul_f32_e32 v56, v25, v10
	v_mul_f32_e32 v25, v25, v9
	v_sub_f32_e32 v3, v5, v55
	v_sub_f32_e32 v4, v6, v4
	v_fmac_f32_e32 v56, v24, v9
	v_fma_f32 v10, v24, v10, -v25
	v_fma_f32 v5, v5, 2.0, -v3
	v_fma_f32 v6, v6, 2.0, -v4
	v_mul_f32_e32 v57, v28, v12
	v_mul_f32_e32 v28, v28, v11
	v_sub_f32_e32 v9, v7, v56
	v_sub_f32_e32 v10, v8, v10
	ds_write2_b64 v33, v[5:6], v[3:4] offset1:26
	v_mul_u32_u24_e32 v3, 0x1a0, v48
	v_fmac_f32_e32 v57, v27, v11
	v_fma_f32 v12, v27, v12, -v28
	v_fma_f32 v7, v7, 2.0, -v9
	v_fma_f32 v8, v8, 2.0, -v10
	v_add3_u32 v3, 0, v3, v49
	v_mul_f32_e32 v58, v44, v40
	v_mul_f32_e32 v44, v44, v39
	v_sub_f32_e32 v11, v35, v57
	v_sub_f32_e32 v12, v36, v12
	ds_write2_b64 v3, v[7:8], v[9:10] offset1:26
	v_mul_u32_u24_e32 v3, 0x1a0, v50
	v_fmac_f32_e32 v58, v43, v39
	v_fma_f32 v25, v43, v40, -v44
	v_fma_f32 v13, v35, 2.0, -v11
	v_fma_f32 v14, v36, 2.0, -v12
	v_add3_u32 v3, 0, v3, v51
	;; [unrolled: 11-line block ×3, first 2 shown]
	v_sub_f32_e32 v35, v1, v59
	v_sub_f32_e32 v36, v2, v39
	ds_write2_b64 v3, v[27:28], v[24:25] offset1:26
	v_mul_u32_u24_e32 v3, 0x1a0, v54
	v_fma_f32 v1, v1, 2.0, -v35
	v_fma_f32 v2, v2, 2.0, -v36
	v_add3_u32 v3, 0, v3, v15
	v_lshrrev_b16_e32 v15, 12, v29
	ds_write2_b64 v3, v[1:2], v[35:36] offset1:26
	v_mul_lo_u16_e32 v1, 52, v15
	v_sub_u16_e32 v29, v34, v1
	v_mov_b32_e32 v1, 9
	v_mul_u32_u24_sdwa v1, v29, v1 dst_sel:DWORD dst_unused:UNUSED_PAD src0_sel:BYTE_0 src1_sel:DWORD
	v_lshlrev_b32_e32 v24, 3, v1
	s_waitcnt lgkmcnt(0)
	s_barrier
	global_load_dwordx4 v[1:4], v24, s[8:9] offset:312
	global_load_dwordx4 v[5:8], v24, s[8:9] offset:328
	;; [unrolled: 1-line block ×4, first 2 shown]
	global_load_dwordx2 v[13:14], v24, s[8:9] offset:376
	ds_read2_b64 v[39:42], v26 offset1:156
	ds_read2_b64 v[43:46], v62 offset0:56 offset1:212
	ds_read2_b64 v[47:50], v60 offset0:48 offset1:204
	;; [unrolled: 1-line block ×4, first 2 shown]
	v_mul_u32_u24_e32 v15, 0x1040, v15
	v_lshlrev_b32_sdwa v0, v0, v29 dst_sel:DWORD dst_unused:UNUSED_PAD src0_sel:DWORD src1_sel:BYTE_0
	v_add3_u32 v0, 0, v15, v0
	s_waitcnt vmcnt(0) lgkmcnt(0)
	s_barrier
	v_mul_f32_e32 v25, v4, v44
	v_mul_f32_e32 v24, v2, v42
	;; [unrolled: 1-line block ×8, first 2 shown]
	v_fmac_f32_e32 v25, v3, v43
	v_fmac_f32_e32 v24, v1, v41
	v_fma_f32 v41, v1, v42, -v2
	v_fma_f32 v1, v3, v44, -v4
	v_fmac_f32_e32 v28, v7, v47
	v_fmac_f32_e32 v33, v9, v49
	v_fma_f32 v4, v9, v50, -v10
	v_fmac_f32_e32 v59, v51, v11
	v_add_f32_e32 v9, v39, v25
	v_mul_f32_e32 v27, v6, v46
	v_mul_f32_e32 v6, v6, v45
	;; [unrolled: 1-line block ×6, first 2 shown]
	v_add_f32_e32 v10, v28, v59
	v_add_f32_e32 v9, v9, v28
	v_mul_f32_e32 v62, v58, v14
	v_mul_f32_e32 v14, v57, v14
	v_fmac_f32_e32 v27, v5, v45
	v_fma_f32 v2, v5, v46, -v6
	v_fma_f32 v3, v7, v48, -v8
	v_fma_f32 v5, v52, v11, -v12
	v_fmac_f32_e32 v61, v55, v37
	v_fma_f32 v7, v56, v37, -v38
	v_add_f32_e32 v9, v9, v59
	v_fma_f32 v12, -0.5, v10, v39
	v_mul_f32_e32 v60, v54, v36
	v_mul_f32_e32 v36, v53, v36
	v_fmac_f32_e32 v62, v57, v13
	v_fma_f32 v8, v58, v13, -v14
	v_add_f32_e32 v11, v9, v61
	v_sub_f32_e32 v9, v1, v7
	v_mov_b32_e32 v13, v12
	v_fmac_f32_e32 v60, v53, v35
	v_fma_f32 v6, v54, v35, -v36
	v_fmac_f32_e32 v13, 0xbf737871, v9
	v_sub_f32_e32 v10, v3, v5
	v_sub_f32_e32 v14, v25, v28
	;; [unrolled: 1-line block ×3, first 2 shown]
	v_fmac_f32_e32 v12, 0x3f737871, v9
	v_fmac_f32_e32 v13, 0xbf167918, v10
	v_add_f32_e32 v14, v14, v35
	v_fmac_f32_e32 v12, 0x3f167918, v10
	v_fmac_f32_e32 v13, 0x3e9e377a, v14
	;; [unrolled: 1-line block ×3, first 2 shown]
	v_add_f32_e32 v14, v25, v61
	v_fma_f32 v14, -0.5, v14, v39
	v_mov_b32_e32 v35, v14
	v_fmac_f32_e32 v35, 0x3f737871, v10
	v_fmac_f32_e32 v14, 0xbf737871, v10
	;; [unrolled: 1-line block ×4, first 2 shown]
	v_add_f32_e32 v9, v40, v1
	v_sub_f32_e32 v36, v28, v25
	v_sub_f32_e32 v37, v59, v61
	v_add_f32_e32 v9, v9, v3
	v_add_f32_e32 v36, v36, v37
	;; [unrolled: 1-line block ×3, first 2 shown]
	v_fmac_f32_e32 v35, 0x3e9e377a, v36
	v_fmac_f32_e32 v14, 0x3e9e377a, v36
	v_add_f32_e32 v36, v9, v7
	v_add_f32_e32 v9, v3, v5
	v_fma_f32 v37, -0.5, v9, v40
	v_sub_f32_e32 v9, v25, v61
	v_mov_b32_e32 v25, v37
	v_fmac_f32_e32 v25, 0x3f737871, v9
	v_sub_f32_e32 v10, v28, v59
	v_sub_f32_e32 v28, v1, v3
	;; [unrolled: 1-line block ×3, first 2 shown]
	v_fmac_f32_e32 v37, 0xbf737871, v9
	v_fmac_f32_e32 v25, 0x3f167918, v10
	v_add_f32_e32 v28, v28, v38
	v_fmac_f32_e32 v37, 0xbf167918, v10
	v_fmac_f32_e32 v25, 0x3e9e377a, v28
	;; [unrolled: 1-line block ×3, first 2 shown]
	v_add_f32_e32 v28, v1, v7
	v_fma_f32 v38, -0.5, v28, v40
	v_mov_b32_e32 v28, v38
	v_fmac_f32_e32 v28, 0xbf737871, v10
	v_sub_f32_e32 v1, v3, v1
	v_sub_f32_e32 v3, v5, v7
	v_fmac_f32_e32 v38, 0x3f737871, v10
	v_fmac_f32_e32 v28, 0x3f167918, v9
	v_add_f32_e32 v1, v1, v3
	v_fmac_f32_e32 v38, 0xbf167918, v9
	v_fmac_f32_e32 v28, 0x3e9e377a, v1
	;; [unrolled: 1-line block ×3, first 2 shown]
	v_add_f32_e32 v1, v24, v27
	v_add_f32_e32 v1, v1, v33
	;; [unrolled: 1-line block ×5, first 2 shown]
	v_fma_f32 v10, -0.5, v1, v24
	v_sub_f32_e32 v1, v2, v8
	v_mov_b32_e32 v40, v10
	v_fmac_f32_e32 v40, 0xbf737871, v1
	v_sub_f32_e32 v3, v4, v6
	v_sub_f32_e32 v5, v27, v33
	;; [unrolled: 1-line block ×3, first 2 shown]
	v_fmac_f32_e32 v10, 0x3f737871, v1
	v_fmac_f32_e32 v40, 0xbf167918, v3
	v_add_f32_e32 v5, v5, v7
	v_fmac_f32_e32 v10, 0x3f167918, v3
	v_fmac_f32_e32 v40, 0x3e9e377a, v5
	;; [unrolled: 1-line block ×3, first 2 shown]
	v_add_f32_e32 v5, v27, v62
	v_fmac_f32_e32 v24, -0.5, v5
	v_mov_b32_e32 v42, v24
	v_fmac_f32_e32 v42, 0x3f737871, v3
	v_fmac_f32_e32 v24, 0xbf737871, v3
	;; [unrolled: 1-line block ×4, first 2 shown]
	v_add_f32_e32 v1, v41, v2
	v_add_f32_e32 v1, v1, v4
	;; [unrolled: 1-line block ×5, first 2 shown]
	v_sub_f32_e32 v5, v33, v27
	v_sub_f32_e32 v7, v60, v62
	v_fma_f32 v44, -0.5, v1, v41
	v_add_f32_e32 v5, v5, v7
	v_sub_f32_e32 v1, v27, v62
	v_mov_b32_e32 v27, v44
	v_fmac_f32_e32 v42, 0x3e9e377a, v5
	v_fmac_f32_e32 v24, 0x3e9e377a, v5
	v_fmac_f32_e32 v27, 0x3f737871, v1
	v_sub_f32_e32 v3, v33, v60
	v_sub_f32_e32 v5, v2, v4
	;; [unrolled: 1-line block ×3, first 2 shown]
	v_fmac_f32_e32 v44, 0xbf737871, v1
	v_fmac_f32_e32 v27, 0x3f167918, v3
	v_add_f32_e32 v5, v5, v7
	v_fmac_f32_e32 v44, 0xbf167918, v3
	v_fmac_f32_e32 v27, 0x3e9e377a, v5
	;; [unrolled: 1-line block ×3, first 2 shown]
	v_add_f32_e32 v5, v2, v8
	v_fmac_f32_e32 v41, -0.5, v5
	v_mov_b32_e32 v33, v41
	v_fmac_f32_e32 v33, 0xbf737871, v3
	v_sub_f32_e32 v2, v4, v2
	v_sub_f32_e32 v4, v6, v8
	v_fmac_f32_e32 v41, 0x3f737871, v3
	v_fmac_f32_e32 v33, 0x3f167918, v1
	v_add_f32_e32 v2, v2, v4
	v_fmac_f32_e32 v41, 0xbf167918, v1
	v_fmac_f32_e32 v33, 0x3e9e377a, v2
	;; [unrolled: 1-line block ×3, first 2 shown]
	v_mul_f32_e32 v45, 0xbf167918, v27
	v_mul_f32_e32 v49, 0x3f4f1bbd, v27
	v_fmac_f32_e32 v45, 0x3f4f1bbd, v40
	v_mul_f32_e32 v46, 0xbf737871, v33
	v_mul_f32_e32 v47, 0xbf737871, v41
	v_mul_f32_e32 v48, 0xbf167918, v44
	v_fmac_f32_e32 v49, 0x3f167918, v40
	v_mul_f32_e32 v33, 0x3e9e377a, v33
	v_mul_f32_e32 v40, 0xbe9e377a, v41
	;; [unrolled: 1-line block ×3, first 2 shown]
	v_add_f32_e32 v1, v11, v39
	v_add_f32_e32 v3, v13, v45
	v_fmac_f32_e32 v46, 0x3e9e377a, v42
	v_fmac_f32_e32 v47, 0xbe9e377a, v24
	;; [unrolled: 1-line block ×3, first 2 shown]
	v_add_f32_e32 v2, v36, v43
	v_add_f32_e32 v4, v25, v49
	v_fmac_f32_e32 v33, 0x3f737871, v42
	v_fmac_f32_e32 v40, 0x3f737871, v24
	;; [unrolled: 1-line block ×3, first 2 shown]
	v_add_f32_e32 v5, v35, v46
	v_add_f32_e32 v7, v14, v47
	v_add_f32_e32 v9, v12, v48
	v_add_f32_e32 v6, v28, v33
	v_add_f32_e32 v8, v38, v40
	v_add_f32_e32 v10, v37, v41
	v_sub_f32_e32 v11, v11, v39
	v_sub_f32_e32 v13, v13, v45
	;; [unrolled: 1-line block ×8, first 2 shown]
	ds_write2_b64 v0, v[1:2], v[3:4] offset1:52
	ds_write2_b64 v0, v[5:6], v[7:8] offset0:104 offset1:156
	v_add_u32_e32 v1, 0x400, v0
	v_add_u32_e32 v0, 0x800, v0
	v_sub_f32_e32 v36, v38, v40
	v_sub_f32_e32 v25, v37, v41
	ds_write2_b64 v1, v[9:10], v[11:12] offset0:80 offset1:132
	ds_write2_b64 v0, v[13:14], v[27:28] offset0:56 offset1:108
	;; [unrolled: 1-line block ×3, first 2 shown]
	v_add_u32_e32 v0, 0x900, v26
	v_add_u32_e32 v8, 0x2000, v26
	;; [unrolled: 1-line block ×3, first 2 shown]
	s_waitcnt lgkmcnt(0)
	s_barrier
	ds_read2_b64 v[4:7], v26 offset1:156
	ds_read2_b64 v[0:3], v0 offset0:24 offset1:232
	ds_read2_b64 v[8:11], v8 offset0:16 offset1:172
	;; [unrolled: 1-line block ×3, first 2 shown]
	ds_read_b64 v[28:29], v26 offset:10816
	s_and_saveexec_b64 s[4:5], s[0:1]
	s_cbranch_execz .LBB0_15
; %bb.14:
	ds_read_b64 v[24:25], v26 offset:3744
	ds_read_b64 v[22:23], v26 offset:7904
	;; [unrolled: 1-line block ×3, first 2 shown]
.LBB0_15:
	s_or_b64 exec, exec, s[4:5]
	s_and_saveexec_b64 s[4:5], vcc
	s_cbranch_execz .LBB0_18
; %bb.16:
	v_lshlrev_b32_e32 v26, 1, v31
	v_mov_b32_e32 v27, 0
	v_lshlrev_b64 v[35:36], 3, v[26:27]
	v_lshlrev_b32_e32 v26, 1, v32
	v_mov_b32_e32 v33, s9
	v_add_co_u32_e32 v35, vcc, s8, v35
	v_lshlrev_b64 v[39:40], 3, v[26:27]
	v_addc_co_u32_e32 v36, vcc, v33, v36, vcc
	v_add_co_u32_e32 v39, vcc, s8, v39
	global_load_dwordx4 v[35:38], v[35:36], off offset:4056
	v_addc_co_u32_e32 v40, vcc, v33, v40, vcc
	global_load_dwordx4 v[39:42], v[39:40], off offset:4056
	v_lshlrev_b32_e32 v26, 1, v34
	v_lshlrev_b64 v[43:44], 3, v[26:27]
	v_mul_lo_u32 v26, s3, v18
	v_add_co_u32_e32 v43, vcc, s8, v43
	v_addc_co_u32_e32 v44, vcc, v33, v44, vcc
	global_load_dwordx4 v[43:46], v[43:44], off offset:4056
	v_mul_lo_u32 v33, s2, v19
	v_mad_u64_u32 v[18:19], s[2:3], s2, v18, 0
	s_movk_i32 s4, 0x410
	v_add3_u32 v19, v19, v33, v26
	s_waitcnt vmcnt(2) lgkmcnt(0)
	v_mul_f32_e32 v26, v38, v28
	v_mul_f32_e32 v33, v36, v14
	v_mul_f32_e32 v36, v36, v15
	v_mul_f32_e32 v38, v38, v29
	v_fma_f32 v26, v37, v29, -v26
	v_fma_f32 v15, v35, v15, -v33
	v_fmac_f32_e32 v36, v35, v14
	v_fmac_f32_e32 v38, v37, v28
	s_waitcnt vmcnt(1)
	v_mul_f32_e32 v29, v40, v13
	v_mul_f32_e32 v33, v42, v11
	;; [unrolled: 1-line block ×4, first 2 shown]
	v_add_f32_e32 v37, v0, v36
	v_sub_f32_e32 v42, v36, v38
	v_add_f32_e32 v36, v38, v36
	v_fmac_f32_e32 v29, v39, v12
	v_fmac_f32_e32 v33, v41, v10
	v_add_f32_e32 v35, v1, v15
	v_fma_f32 v13, v39, v13, -v14
	v_fma_f32 v14, v41, v11, -v28
	v_fmac_f32_e32 v0, -0.5, v36
	v_add_f32_e32 v36, v29, v33
	v_add_f32_e32 v40, v26, v15
	v_sub_f32_e32 v15, v15, v26
	v_add_f32_e32 v11, v26, v35
	v_add_f32_e32 v10, v38, v37
	;; [unrolled: 1-line block ×3, first 2 shown]
	v_sub_f32_e32 v35, v29, v33
	v_sub_f32_e32 v37, v13, v14
	v_add_f32_e32 v13, v7, v13
	v_add_f32_e32 v29, v6, v29
	v_fma_f32 v6, -0.5, v36, v6
	v_add_f32_e32 v13, v13, v14
	v_mov_b32_e32 v14, v6
	v_fmac_f32_e32 v6, 0xbf5db3d7, v37
	v_fmac_f32_e32 v14, 0x3f5db3d7, v37
	v_mad_u64_u32 v[37:38], s[2:3], s20, v34, 0
	s_waitcnt vmcnt(0)
	v_mul_f32_e32 v12, v44, v2
	v_mul_f32_e32 v28, v46, v8
	;; [unrolled: 1-line block ×3, first 2 shown]
	v_fma_f32 v1, -0.5, v40, v1
	v_fma_f32 v3, v43, v3, -v12
	v_fma_f32 v40, v45, v9, -v28
	v_fmac_f32_e32 v39, v43, v2
	v_add_f32_e32 v2, v3, v40
	v_add_f32_e32 v12, v29, v33
	v_fma_f32 v29, -0.5, v2, v5
	v_mov_b32_e32 v2, v38
	v_sub_f32_e32 v33, v3, v40
	v_add_f32_e32 v5, v5, v3
	v_mad_u64_u32 v[2:3], s[2:3], s21, v34, v[2:3]
	v_mul_f32_e32 v41, v46, v9
	v_fmac_f32_e32 v41, v45, v8
	v_add_f32_e32 v28, v39, v41
	v_add_f32_e32 v3, v4, v39
	v_fma_f32 v28, -0.5, v28, v4
	v_add_f32_e32 v4, v3, v41
	v_mov_b32_e32 v38, v2
	v_lshlrev_b64 v[2:3], 3, v[18:19]
	v_mov_b32_e32 v18, s15
	v_add_co_u32_e32 v19, vcc, s14, v2
	v_addc_co_u32_e32 v18, vcc, v18, v3, vcc
	v_lshlrev_b64 v[2:3], 3, v[16:17]
	v_fma_f32 v7, -0.5, v26, v7
	v_sub_f32_e32 v26, v39, v41
	v_mov_b32_e32 v36, v29
	v_fmac_f32_e32 v36, 0xbf5db3d7, v26
	v_fmac_f32_e32 v29, 0x3f5db3d7, v26
	v_add_co_u32_e32 v2, vcc, v19, v2
	v_add_u32_e32 v26, 0x208, v34
	v_addc_co_u32_e32 v3, vcc, v18, v3, vcc
	v_mad_u64_u32 v[18:19], s[2:3], s20, v26, 0
	v_lshlrev_b64 v[16:17], 3, v[37:38]
	v_add_f32_e32 v5, v5, v40
	v_mad_u64_u32 v[37:38], s[2:3], s21, v26, v[19:20]
	v_add_u32_e32 v26, 0x410, v34
	v_mad_u64_u32 v[38:39], s[2:3], s20, v26, 0
	v_add_co_u32_e32 v16, vcc, v2, v16
	v_addc_co_u32_e32 v17, vcc, v3, v17, vcc
	global_store_dwordx2 v[16:17], v[4:5], off
	v_mov_b32_e32 v16, v39
	v_mad_u64_u32 v[16:17], s[2:3], s21, v26, v[16:17]
	v_mov_b32_e32 v19, v37
	v_lshlrev_b64 v[4:5], 3, v[18:19]
	v_mov_b32_e32 v39, v16
	v_mad_u64_u32 v[16:17], s[2:3], s20, v32, 0
	v_mov_b32_e32 v8, v0
	v_fmac_f32_e32 v0, 0xbf5db3d7, v15
	v_fmac_f32_e32 v8, 0x3f5db3d7, v15
	v_mov_b32_e32 v15, v7
	v_add_co_u32_e32 v4, vcc, v2, v4
	v_fmac_f32_e32 v7, 0x3f5db3d7, v35
	v_fmac_f32_e32 v15, 0xbf5db3d7, v35
	v_mov_b32_e32 v35, v28
	v_fmac_f32_e32 v28, 0xbf5db3d7, v33
	v_addc_co_u32_e32 v5, vcc, v3, v5, vcc
	v_mad_u64_u32 v[17:18], s[2:3], s21, v32, v[17:18]
	v_add_u32_e32 v26, 0x2a4, v34
	global_store_dwordx2 v[4:5], v[28:29], off
	v_lshlrev_b64 v[4:5], 3, v[38:39]
	v_mad_u64_u32 v[18:19], s[2:3], s20, v26, 0
	v_add_co_u32_e32 v4, vcc, v2, v4
	v_fmac_f32_e32 v35, 0x3f5db3d7, v33
	v_addc_co_u32_e32 v5, vcc, v3, v5, vcc
	global_store_dwordx2 v[4:5], v[35:36], off
	v_lshlrev_b64 v[4:5], 3, v[16:17]
	v_mov_b32_e32 v16, v19
	v_mad_u64_u32 v[16:17], s[2:3], s21, v26, v[16:17]
	v_add_co_u32_e32 v4, vcc, v2, v4
	v_addc_co_u32_e32 v5, vcc, v3, v5, vcc
	v_mov_b32_e32 v19, v16
	v_add_u32_e32 v16, 0x4ac, v34
	global_store_dwordx2 v[4:5], v[12:13], off
	v_mad_u64_u32 v[12:13], s[2:3], s20, v16, 0
	s_mov_b32 s2, 0xfc0fc0fd
	v_lshlrev_b64 v[4:5], 3, v[18:19]
	v_mul_hi_u32 v18, v31, s2
	v_mad_u64_u32 v[16:17], s[2:3], s21, v16, v[13:14]
	v_add_co_u32_e32 v4, vcc, v2, v4
	v_lshrrev_b32_e32 v13, 9, v18
	v_mad_u32_u24 v19, v13, s4, v31
	v_mad_u64_u32 v[17:18], s[2:3], s20, v19, 0
	v_addc_co_u32_e32 v5, vcc, v3, v5, vcc
	global_store_dwordx2 v[4:5], v[6:7], off
	v_mov_b32_e32 v6, v18
	v_mad_u64_u32 v[6:7], s[2:3], s21, v19, v[6:7]
	v_mov_b32_e32 v13, v16
	v_lshlrev_b64 v[4:5], 3, v[12:13]
	v_add_u32_e32 v12, 0x208, v19
	v_mov_b32_e32 v18, v6
	v_mad_u64_u32 v[6:7], s[2:3], s20, v12, 0
	v_add_co_u32_e32 v4, vcc, v2, v4
	v_addc_co_u32_e32 v5, vcc, v3, v5, vcc
	global_store_dwordx2 v[4:5], v[14:15], off
	v_mad_u64_u32 v[12:13], s[2:3], s21, v12, v[7:8]
	v_add_u32_e32 v15, 0x410, v19
	v_lshlrev_b64 v[4:5], 3, v[17:18]
	v_mad_u64_u32 v[13:14], s[2:3], s20, v15, 0
	v_add_co_u32_e32 v4, vcc, v2, v4
	v_addc_co_u32_e32 v5, vcc, v3, v5, vcc
	v_mov_b32_e32 v7, v12
	global_store_dwordx2 v[4:5], v[10:11], off
	v_lshlrev_b64 v[4:5], 3, v[6:7]
	v_mov_b32_e32 v6, v14
	v_mad_u64_u32 v[6:7], s[2:3], s21, v15, v[6:7]
	v_add_co_u32_e32 v4, vcc, v2, v4
	v_mov_b32_e32 v9, v1
	v_fmac_f32_e32 v1, 0x3f5db3d7, v42
	v_addc_co_u32_e32 v5, vcc, v3, v5, vcc
	v_mov_b32_e32 v14, v6
	global_store_dwordx2 v[4:5], v[0:1], off
	v_lshlrev_b64 v[0:1], 3, v[13:14]
	v_fmac_f32_e32 v9, 0xbf5db3d7, v42
	v_add_co_u32_e32 v0, vcc, v2, v0
	v_addc_co_u32_e32 v1, vcc, v3, v1, vcc
	global_store_dwordx2 v[0:1], v[8:9], off
	s_and_b64 exec, exec, s[0:1]
	s_cbranch_execz .LBB0_18
; %bb.17:
	v_subrev_u32_e32 v0, 52, v34
	v_cndmask_b32_e64 v0, v0, v30, s[0:1]
	v_lshlrev_b32_e32 v26, 1, v0
	v_lshlrev_b64 v[0:1], 3, v[26:27]
	v_mov_b32_e32 v4, s9
	v_add_co_u32_e32 v0, vcc, s8, v0
	v_addc_co_u32_e32 v1, vcc, v4, v1, vcc
	global_load_dwordx4 v[4:7], v[0:1], off offset:4056
	v_mad_u64_u32 v[0:1], s[0:1], s20, v30, 0
	v_add_u32_e32 v14, 0x3dc, v34
	v_mad_u64_u32 v[8:9], s[0:1], s20, v14, 0
	v_add_u32_e32 v15, 0x5e4, v34
	v_mad_u64_u32 v[10:11], s[0:1], s20, v15, 0
	v_mad_u64_u32 v[12:13], s[0:1], s21, v30, v[1:2]
	v_mov_b32_e32 v1, v9
	v_mad_u64_u32 v[13:14], s[0:1], s21, v14, v[1:2]
	v_mov_b32_e32 v9, v11
	;; [unrolled: 2-line block ×3, first 2 shown]
	v_lshlrev_b64 v[0:1], 3, v[0:1]
	v_mov_b32_e32 v9, v13
	v_lshlrev_b64 v[8:9], 3, v[8:9]
	v_add_co_u32_e32 v0, vcc, v2, v0
	v_mov_b32_e32 v11, v14
	v_addc_co_u32_e32 v1, vcc, v3, v1, vcc
	v_lshlrev_b64 v[10:11], 3, v[10:11]
	v_add_co_u32_e32 v8, vcc, v2, v8
	v_addc_co_u32_e32 v9, vcc, v3, v9, vcc
	v_add_co_u32_e32 v2, vcc, v2, v10
	v_addc_co_u32_e32 v3, vcc, v3, v11, vcc
	s_waitcnt vmcnt(0)
	v_mul_f32_e32 v10, v23, v5
	v_mul_f32_e32 v5, v22, v5
	;; [unrolled: 1-line block ×4, first 2 shown]
	v_fmac_f32_e32 v10, v22, v4
	v_fma_f32 v4, v23, v4, -v5
	v_fmac_f32_e32 v11, v20, v6
	v_fma_f32 v5, v21, v6, -v7
	v_add_f32_e32 v7, v10, v11
	v_add_f32_e32 v14, v4, v5
	;; [unrolled: 1-line block ×4, first 2 shown]
	v_fmac_f32_e32 v24, -0.5, v7
	v_fmac_f32_e32 v25, -0.5, v14
	v_sub_f32_e32 v12, v4, v5
	v_sub_f32_e32 v10, v10, v11
	v_add_f32_e32 v4, v6, v11
	v_mov_b32_e32 v6, v24
	v_mov_b32_e32 v7, v25
	v_add_f32_e32 v5, v13, v5
	v_fmac_f32_e32 v6, 0xbf5db3d7, v12
	v_fmac_f32_e32 v7, 0x3f5db3d7, v10
	;; [unrolled: 1-line block ×4, first 2 shown]
	global_store_dwordx2 v[0:1], v[4:5], off
	global_store_dwordx2 v[8:9], v[6:7], off
	;; [unrolled: 1-line block ×3, first 2 shown]
.LBB0_18:
	s_endpgm
	.section	.rodata,"a",@progbits
	.p2align	6, 0x0
	.amdhsa_kernel fft_rtc_back_len1560_factors_13_2_2_10_3_wgs_156_tpt_156_sp_op_CI_CI_sbrr_dirReg
		.amdhsa_group_segment_fixed_size 0
		.amdhsa_private_segment_fixed_size 0
		.amdhsa_kernarg_size 104
		.amdhsa_user_sgpr_count 6
		.amdhsa_user_sgpr_private_segment_buffer 1
		.amdhsa_user_sgpr_dispatch_ptr 0
		.amdhsa_user_sgpr_queue_ptr 0
		.amdhsa_user_sgpr_kernarg_segment_ptr 1
		.amdhsa_user_sgpr_dispatch_id 0
		.amdhsa_user_sgpr_flat_scratch_init 0
		.amdhsa_user_sgpr_private_segment_size 0
		.amdhsa_uses_dynamic_stack 0
		.amdhsa_system_sgpr_private_segment_wavefront_offset 0
		.amdhsa_system_sgpr_workgroup_id_x 1
		.amdhsa_system_sgpr_workgroup_id_y 0
		.amdhsa_system_sgpr_workgroup_id_z 0
		.amdhsa_system_sgpr_workgroup_info 0
		.amdhsa_system_vgpr_workitem_id 0
		.amdhsa_next_free_vgpr 126
		.amdhsa_next_free_sgpr 32
		.amdhsa_reserve_vcc 1
		.amdhsa_reserve_flat_scratch 0
		.amdhsa_float_round_mode_32 0
		.amdhsa_float_round_mode_16_64 0
		.amdhsa_float_denorm_mode_32 3
		.amdhsa_float_denorm_mode_16_64 3
		.amdhsa_dx10_clamp 1
		.amdhsa_ieee_mode 1
		.amdhsa_fp16_overflow 0
		.amdhsa_exception_fp_ieee_invalid_op 0
		.amdhsa_exception_fp_denorm_src 0
		.amdhsa_exception_fp_ieee_div_zero 0
		.amdhsa_exception_fp_ieee_overflow 0
		.amdhsa_exception_fp_ieee_underflow 0
		.amdhsa_exception_fp_ieee_inexact 0
		.amdhsa_exception_int_div_zero 0
	.end_amdhsa_kernel
	.text
.Lfunc_end0:
	.size	fft_rtc_back_len1560_factors_13_2_2_10_3_wgs_156_tpt_156_sp_op_CI_CI_sbrr_dirReg, .Lfunc_end0-fft_rtc_back_len1560_factors_13_2_2_10_3_wgs_156_tpt_156_sp_op_CI_CI_sbrr_dirReg
                                        ; -- End function
	.section	.AMDGPU.csdata,"",@progbits
; Kernel info:
; codeLenInByte = 8928
; NumSgprs: 36
; NumVgprs: 126
; ScratchSize: 0
; MemoryBound: 0
; FloatMode: 240
; IeeeMode: 1
; LDSByteSize: 0 bytes/workgroup (compile time only)
; SGPRBlocks: 4
; VGPRBlocks: 31
; NumSGPRsForWavesPerEU: 36
; NumVGPRsForWavesPerEU: 126
; Occupancy: 2
; WaveLimiterHint : 1
; COMPUTE_PGM_RSRC2:SCRATCH_EN: 0
; COMPUTE_PGM_RSRC2:USER_SGPR: 6
; COMPUTE_PGM_RSRC2:TRAP_HANDLER: 0
; COMPUTE_PGM_RSRC2:TGID_X_EN: 1
; COMPUTE_PGM_RSRC2:TGID_Y_EN: 0
; COMPUTE_PGM_RSRC2:TGID_Z_EN: 0
; COMPUTE_PGM_RSRC2:TIDIG_COMP_CNT: 0
	.type	__hip_cuid_67b8dd387db32fd2,@object ; @__hip_cuid_67b8dd387db32fd2
	.section	.bss,"aw",@nobits
	.globl	__hip_cuid_67b8dd387db32fd2
__hip_cuid_67b8dd387db32fd2:
	.byte	0                               ; 0x0
	.size	__hip_cuid_67b8dd387db32fd2, 1

	.ident	"AMD clang version 19.0.0git (https://github.com/RadeonOpenCompute/llvm-project roc-6.4.0 25133 c7fe45cf4b819c5991fe208aaa96edf142730f1d)"
	.section	".note.GNU-stack","",@progbits
	.addrsig
	.addrsig_sym __hip_cuid_67b8dd387db32fd2
	.amdgpu_metadata
---
amdhsa.kernels:
  - .args:
      - .actual_access:  read_only
        .address_space:  global
        .offset:         0
        .size:           8
        .value_kind:     global_buffer
      - .offset:         8
        .size:           8
        .value_kind:     by_value
      - .actual_access:  read_only
        .address_space:  global
        .offset:         16
        .size:           8
        .value_kind:     global_buffer
      - .actual_access:  read_only
        .address_space:  global
        .offset:         24
        .size:           8
        .value_kind:     global_buffer
      - .actual_access:  read_only
        .address_space:  global
        .offset:         32
        .size:           8
        .value_kind:     global_buffer
      - .offset:         40
        .size:           8
        .value_kind:     by_value
      - .actual_access:  read_only
        .address_space:  global
        .offset:         48
        .size:           8
        .value_kind:     global_buffer
      - .actual_access:  read_only
        .address_space:  global
        .offset:         56
        .size:           8
        .value_kind:     global_buffer
      - .offset:         64
        .size:           4
        .value_kind:     by_value
      - .actual_access:  read_only
        .address_space:  global
        .offset:         72
        .size:           8
        .value_kind:     global_buffer
      - .actual_access:  read_only
        .address_space:  global
        .offset:         80
        .size:           8
        .value_kind:     global_buffer
      - .actual_access:  read_only
        .address_space:  global
        .offset:         88
        .size:           8
        .value_kind:     global_buffer
      - .actual_access:  write_only
        .address_space:  global
        .offset:         96
        .size:           8
        .value_kind:     global_buffer
    .group_segment_fixed_size: 0
    .kernarg_segment_align: 8
    .kernarg_segment_size: 104
    .language:       OpenCL C
    .language_version:
      - 2
      - 0
    .max_flat_workgroup_size: 156
    .name:           fft_rtc_back_len1560_factors_13_2_2_10_3_wgs_156_tpt_156_sp_op_CI_CI_sbrr_dirReg
    .private_segment_fixed_size: 0
    .sgpr_count:     36
    .sgpr_spill_count: 0
    .symbol:         fft_rtc_back_len1560_factors_13_2_2_10_3_wgs_156_tpt_156_sp_op_CI_CI_sbrr_dirReg.kd
    .uniform_work_group_size: 1
    .uses_dynamic_stack: false
    .vgpr_count:     126
    .vgpr_spill_count: 0
    .wavefront_size: 64
amdhsa.target:   amdgcn-amd-amdhsa--gfx906
amdhsa.version:
  - 1
  - 2
...

	.end_amdgpu_metadata
